;; amdgpu-corpus repo=ROCm/rocFFT kind=compiled arch=gfx950 opt=O3
	.text
	.amdgcn_target "amdgcn-amd-amdhsa--gfx950"
	.amdhsa_code_object_version 6
	.protected	fft_rtc_back_len1210_factors_2_5_11_11_wgs_110_tpt_110_halfLds_sp_ip_CI_sbrr_dirReg ; -- Begin function fft_rtc_back_len1210_factors_2_5_11_11_wgs_110_tpt_110_halfLds_sp_ip_CI_sbrr_dirReg
	.globl	fft_rtc_back_len1210_factors_2_5_11_11_wgs_110_tpt_110_halfLds_sp_ip_CI_sbrr_dirReg
	.p2align	8
	.type	fft_rtc_back_len1210_factors_2_5_11_11_wgs_110_tpt_110_halfLds_sp_ip_CI_sbrr_dirReg,@function
fft_rtc_back_len1210_factors_2_5_11_11_wgs_110_tpt_110_halfLds_sp_ip_CI_sbrr_dirReg: ; @fft_rtc_back_len1210_factors_2_5_11_11_wgs_110_tpt_110_halfLds_sp_ip_CI_sbrr_dirReg
; %bb.0:
	s_load_dwordx2 s[12:13], s[0:1], 0x18
	s_load_dwordx4 s[4:7], s[0:1], 0x0
	s_load_dwordx2 s[10:11], s[0:1], 0x50
	v_mul_u32_u24_e32 v1, 0x254, v0
	v_add_u32_sdwa v6, s2, v1 dst_sel:DWORD dst_unused:UNUSED_PAD src0_sel:DWORD src1_sel:WORD_1
	s_waitcnt lgkmcnt(0)
	s_load_dwordx2 s[8:9], s[12:13], 0x0
	v_mov_b32_e32 v4, 0
	v_cmp_lt_u64_e64 s[2:3], s[6:7], 2
	v_mov_b32_e32 v7, v4
	s_and_b64 vcc, exec, s[2:3]
	v_mov_b64_e32 v[2:3], 0
	s_cbranch_vccnz .LBB0_8
; %bb.1:
	s_load_dwordx2 s[2:3], s[0:1], 0x10
	s_add_u32 s14, s12, 8
	s_addc_u32 s15, s13, 0
	s_mov_b64 s[16:17], 1
	v_mov_b64_e32 v[2:3], 0
	s_waitcnt lgkmcnt(0)
	s_add_u32 s18, s2, 8
	s_addc_u32 s19, s3, 0
.LBB0_2:                                ; =>This Inner Loop Header: Depth=1
	s_load_dwordx2 s[20:21], s[18:19], 0x0
                                        ; implicit-def: $vgpr8_vgpr9
	s_waitcnt lgkmcnt(0)
	v_or_b32_e32 v5, s21, v7
	v_cmp_ne_u64_e32 vcc, 0, v[4:5]
	s_and_saveexec_b64 s[2:3], vcc
	s_xor_b64 s[22:23], exec, s[2:3]
	s_cbranch_execz .LBB0_4
; %bb.3:                                ;   in Loop: Header=BB0_2 Depth=1
	v_cvt_f32_u32_e32 v1, s20
	v_cvt_f32_u32_e32 v5, s21
	s_sub_u32 s2, 0, s20
	s_subb_u32 s3, 0, s21
	v_fmac_f32_e32 v1, 0x4f800000, v5
	v_rcp_f32_e32 v1, v1
	s_nop 0
	v_mul_f32_e32 v1, 0x5f7ffffc, v1
	v_mul_f32_e32 v5, 0x2f800000, v1
	v_trunc_f32_e32 v5, v5
	v_fmac_f32_e32 v1, 0xcf800000, v5
	v_cvt_u32_f32_e32 v5, v5
	v_cvt_u32_f32_e32 v1, v1
	v_mul_lo_u32 v8, s2, v5
	v_mul_hi_u32 v10, s2, v1
	v_mul_lo_u32 v9, s3, v1
	v_add_u32_e32 v10, v10, v8
	v_mul_lo_u32 v12, s2, v1
	v_add_u32_e32 v13, v10, v9
	v_mul_hi_u32 v8, v1, v12
	v_mul_hi_u32 v11, v1, v13
	v_mul_lo_u32 v10, v1, v13
	v_mov_b32_e32 v9, v4
	v_lshl_add_u64 v[8:9], v[8:9], 0, v[10:11]
	v_mul_hi_u32 v11, v5, v12
	v_mul_lo_u32 v12, v5, v12
	v_add_co_u32_e32 v8, vcc, v8, v12
	v_mul_hi_u32 v10, v5, v13
	s_nop 0
	v_addc_co_u32_e32 v8, vcc, v9, v11, vcc
	v_mov_b32_e32 v9, v4
	s_nop 0
	v_addc_co_u32_e32 v11, vcc, 0, v10, vcc
	v_mul_lo_u32 v10, v5, v13
	v_lshl_add_u64 v[8:9], v[8:9], 0, v[10:11]
	v_add_co_u32_e32 v1, vcc, v1, v8
	v_mul_lo_u32 v10, s2, v1
	s_nop 0
	v_addc_co_u32_e32 v5, vcc, v5, v9, vcc
	v_mul_lo_u32 v8, s2, v5
	v_mul_hi_u32 v9, s2, v1
	v_add_u32_e32 v8, v9, v8
	v_mul_lo_u32 v9, s3, v1
	v_add_u32_e32 v12, v8, v9
	v_mul_hi_u32 v14, v5, v10
	v_mul_lo_u32 v15, v5, v10
	v_mul_hi_u32 v9, v1, v12
	v_mul_lo_u32 v8, v1, v12
	v_mul_hi_u32 v10, v1, v10
	v_mov_b32_e32 v11, v4
	v_lshl_add_u64 v[8:9], v[10:11], 0, v[8:9]
	v_add_co_u32_e32 v8, vcc, v8, v15
	v_mul_hi_u32 v13, v5, v12
	s_nop 0
	v_addc_co_u32_e32 v8, vcc, v9, v14, vcc
	v_mul_lo_u32 v10, v5, v12
	s_nop 0
	v_addc_co_u32_e32 v11, vcc, 0, v13, vcc
	v_mov_b32_e32 v9, v4
	v_lshl_add_u64 v[8:9], v[8:9], 0, v[10:11]
	v_add_co_u32_e32 v1, vcc, v1, v8
	v_mul_hi_u32 v10, v6, v1
	s_nop 0
	v_addc_co_u32_e32 v5, vcc, v5, v9, vcc
	v_mad_u64_u32 v[8:9], s[2:3], v6, v5, 0
	v_mov_b32_e32 v11, v4
	v_lshl_add_u64 v[8:9], v[10:11], 0, v[8:9]
	v_mad_u64_u32 v[12:13], s[2:3], v7, v1, 0
	v_add_co_u32_e32 v1, vcc, v8, v12
	v_mad_u64_u32 v[10:11], s[2:3], v7, v5, 0
	s_nop 0
	v_addc_co_u32_e32 v8, vcc, v9, v13, vcc
	v_mov_b32_e32 v9, v4
	s_nop 0
	v_addc_co_u32_e32 v11, vcc, 0, v11, vcc
	v_lshl_add_u64 v[8:9], v[8:9], 0, v[10:11]
	v_mul_lo_u32 v1, s21, v8
	v_mul_lo_u32 v5, s20, v9
	v_mad_u64_u32 v[10:11], s[2:3], s20, v8, 0
	v_add3_u32 v1, v11, v5, v1
	v_sub_u32_e32 v5, v7, v1
	v_mov_b32_e32 v11, s21
	v_sub_co_u32_e32 v14, vcc, v6, v10
	v_lshl_add_u64 v[12:13], v[8:9], 0, 1
	s_nop 0
	v_subb_co_u32_e64 v5, s[2:3], v5, v11, vcc
	v_subrev_co_u32_e64 v10, s[2:3], s20, v14
	v_subb_co_u32_e32 v1, vcc, v7, v1, vcc
	s_nop 0
	v_subbrev_co_u32_e64 v5, s[2:3], 0, v5, s[2:3]
	v_cmp_le_u32_e64 s[2:3], s21, v5
	v_cmp_le_u32_e32 vcc, s21, v1
	s_nop 0
	v_cndmask_b32_e64 v11, 0, -1, s[2:3]
	v_cmp_le_u32_e64 s[2:3], s20, v10
	s_nop 1
	v_cndmask_b32_e64 v10, 0, -1, s[2:3]
	v_cmp_eq_u32_e64 s[2:3], s21, v5
	s_nop 1
	v_cndmask_b32_e64 v5, v11, v10, s[2:3]
	v_lshl_add_u64 v[10:11], v[8:9], 0, 2
	v_cmp_ne_u32_e64 s[2:3], 0, v5
	s_nop 1
	v_cndmask_b32_e64 v5, v13, v11, s[2:3]
	v_cndmask_b32_e64 v11, 0, -1, vcc
	v_cmp_le_u32_e32 vcc, s20, v14
	s_nop 1
	v_cndmask_b32_e64 v13, 0, -1, vcc
	v_cmp_eq_u32_e32 vcc, s21, v1
	s_nop 1
	v_cndmask_b32_e32 v1, v11, v13, vcc
	v_cmp_ne_u32_e32 vcc, 0, v1
	v_cndmask_b32_e64 v1, v12, v10, s[2:3]
	s_nop 0
	v_cndmask_b32_e32 v9, v9, v5, vcc
	v_cndmask_b32_e32 v8, v8, v1, vcc
.LBB0_4:                                ;   in Loop: Header=BB0_2 Depth=1
	s_andn2_saveexec_b64 s[2:3], s[22:23]
	s_cbranch_execz .LBB0_6
; %bb.5:                                ;   in Loop: Header=BB0_2 Depth=1
	v_cvt_f32_u32_e32 v1, s20
	s_sub_i32 s22, 0, s20
	v_rcp_iflag_f32_e32 v1, v1
	s_nop 0
	v_mul_f32_e32 v1, 0x4f7ffffe, v1
	v_cvt_u32_f32_e32 v1, v1
	v_mul_lo_u32 v5, s22, v1
	v_mul_hi_u32 v5, v1, v5
	v_add_u32_e32 v1, v1, v5
	v_mul_hi_u32 v1, v6, v1
	v_mul_lo_u32 v5, v1, s20
	v_sub_u32_e32 v5, v6, v5
	v_add_u32_e32 v8, 1, v1
	v_subrev_u32_e32 v9, s20, v5
	v_cmp_le_u32_e32 vcc, s20, v5
	s_nop 1
	v_cndmask_b32_e32 v5, v5, v9, vcc
	v_cndmask_b32_e32 v1, v1, v8, vcc
	v_add_u32_e32 v8, 1, v1
	v_cmp_le_u32_e32 vcc, s20, v5
	v_mov_b32_e32 v9, v4
	s_nop 0
	v_cndmask_b32_e32 v8, v1, v8, vcc
.LBB0_6:                                ;   in Loop: Header=BB0_2 Depth=1
	s_or_b64 exec, exec, s[2:3]
	v_mad_u64_u32 v[10:11], s[2:3], v8, s20, 0
	s_load_dwordx2 s[2:3], s[14:15], 0x0
	v_mul_lo_u32 v1, v9, s20
	v_mul_lo_u32 v5, v8, s21
	v_add3_u32 v1, v11, v5, v1
	v_sub_co_u32_e32 v5, vcc, v6, v10
	s_add_u32 s16, s16, 1
	s_nop 0
	v_subb_co_u32_e32 v1, vcc, v7, v1, vcc
	s_addc_u32 s17, s17, 0
	s_waitcnt lgkmcnt(0)
	v_mul_lo_u32 v1, s2, v1
	v_mul_lo_u32 v6, s3, v5
	v_mad_u64_u32 v[2:3], s[2:3], s2, v5, v[2:3]
	s_add_u32 s14, s14, 8
	v_add3_u32 v3, v6, v3, v1
	s_addc_u32 s15, s15, 0
	v_mov_b64_e32 v[6:7], s[6:7]
	s_add_u32 s18, s18, 8
	v_cmp_ge_u64_e32 vcc, s[16:17], v[6:7]
	s_addc_u32 s19, s19, 0
	s_cbranch_vccnz .LBB0_9
; %bb.7:                                ;   in Loop: Header=BB0_2 Depth=1
	v_mov_b64_e32 v[6:7], v[8:9]
	s_branch .LBB0_2
.LBB0_8:
	v_mov_b64_e32 v[8:9], v[6:7]
.LBB0_9:
	s_lshl_b64 s[2:3], s[6:7], 3
	s_add_u32 s2, s12, s2
	s_addc_u32 s3, s13, s3
	s_load_dwordx2 s[6:7], s[2:3], 0x0
	s_load_dwordx2 s[12:13], s[0:1], 0x20
	s_mov_b32 s2, 0x253c826
                                        ; implicit-def: $vgpr45
                                        ; implicit-def: $vgpr42
                                        ; implicit-def: $vgpr43
                                        ; implicit-def: $vgpr44
	s_waitcnt lgkmcnt(0)
	v_mul_lo_u32 v1, s6, v9
	v_mul_lo_u32 v4, s7, v8
	v_mad_u64_u32 v[2:3], s[0:1], s6, v8, v[2:3]
	v_add3_u32 v3, v4, v3, v1
	v_mul_hi_u32 v1, v0, s2
	v_mul_u32_u24_e32 v1, 0x6e, v1
	v_cmp_gt_u64_e32 vcc, s[12:13], v[8:9]
	v_cmp_le_u64_e64 s[0:1], s[12:13], v[8:9]
	v_sub_u32_e32 v41, v0, v1
                                        ; implicit-def: $sgpr6
                                        ; implicit-def: $sgpr7
	s_and_saveexec_b64 s[2:3], s[0:1]
	s_xor_b64 s[0:1], exec, s[2:3]
; %bb.10:
	v_add_u32_e32 v45, 0x6e, v41
	v_add_u32_e32 v42, 0xdc, v41
	;; [unrolled: 1-line block ×4, first 2 shown]
	s_mov_b32 s7, 0
	s_mov_b32 s6, 0
; %bb.11:
	s_or_saveexec_b64 s[2:3], s[0:1]
	v_mov_b32_e32 v40, s7
	v_mov_b32_e32 v16, s6
	v_lshl_add_u64 v[0:1], v[2:3], 3, s[10:11]
	v_mov_b32_e32 v17, s6
                                        ; implicit-def: $vgpr26
                                        ; implicit-def: $vgpr14
                                        ; implicit-def: $vgpr4
                                        ; implicit-def: $vgpr2
                                        ; implicit-def: $vgpr10
                                        ; implicit-def: $vgpr6
                                        ; implicit-def: $vgpr12
                                        ; implicit-def: $vgpr18
                                        ; implicit-def: $vgpr24
                                        ; implicit-def: $vgpr20
                                        ; implicit-def: $vgpr28
	s_xor_b64 exec, exec, s[2:3]
	s_cbranch_execz .LBB0_15
; %bb.12:
	v_mad_u64_u32 v[2:3], s[0:1], s8, v41, 0
	v_mov_b32_e32 v4, v3
	v_mad_u64_u32 v[4:5], s[0:1], s9, v41, v[4:5]
	v_mov_b32_e32 v3, v4
	v_add_u32_e32 v7, 0x25d, v41
	v_lshl_add_u64 v[4:5], v[2:3], 3, v[0:1]
	v_mad_u64_u32 v[2:3], s[0:1], s8, v7, 0
	v_mov_b32_e32 v6, v3
	v_mad_u64_u32 v[6:7], s[0:1], s9, v7, v[6:7]
	v_mov_b32_e32 v3, v6
	v_add_u32_e32 v45, 0x6e, v41
	v_lshl_add_u64 v[8:9], v[2:3], 3, v[0:1]
	;; [unrolled: 6-line block ×4, first 2 shown]
	global_load_dwordx2 v[2:3], v[4:5], off
	global_load_dwordx2 v[10:11], v[8:9], off
	;; [unrolled: 1-line block ×4, first 2 shown]
	v_mad_u64_u32 v[4:5], s[0:1], s8, v42, 0
	v_mov_b32_e32 v8, v5
	v_mad_u64_u32 v[8:9], s[0:1], s9, v42, v[8:9]
	v_add_u32_e32 v15, 0x339, v41
	v_mov_b32_e32 v5, v8
	v_mad_u64_u32 v[8:9], s[0:1], s8, v15, 0
	v_mov_b32_e32 v14, v9
	v_mad_u64_u32 v[14:15], s[0:1], s9, v15, v[14:15]
	v_add_u32_e32 v43, 0x14a, v41
	v_mov_b32_e32 v9, v14
	v_mad_u64_u32 v[14:15], s[0:1], s8, v43, 0
	v_mov_b32_e32 v16, v15
	v_mad_u64_u32 v[16:17], s[0:1], s9, v43, v[16:17]
	v_mov_b32_e32 v15, v16
	v_add_u32_e32 v19, 0x3a7, v41
	v_lshl_add_u64 v[16:17], v[14:15], 3, v[0:1]
	v_mad_u64_u32 v[14:15], s[0:1], s8, v19, 0
	v_mov_b32_e32 v18, v15
	v_mad_u64_u32 v[18:19], s[0:1], s9, v19, v[18:19]
	v_lshl_add_u64 v[4:5], v[4:5], 3, v[0:1]
	v_mov_b32_e32 v15, v18
	v_add_u32_e32 v44, 0x1b8, v41
	v_lshl_add_u64 v[8:9], v[8:9], 3, v[0:1]
	v_lshl_add_u64 v[22:23], v[14:15], 3, v[0:1]
	global_load_dwordx2 v[18:19], v[4:5], off
	global_load_dwordx2 v[24:25], v[8:9], off
	;; [unrolled: 1-line block ×4, first 2 shown]
	v_mad_u64_u32 v[4:5], s[0:1], s8, v44, 0
	v_mov_b32_e32 v8, v5
	v_mad_u64_u32 v[8:9], s[0:1], s9, v44, v[8:9]
	v_add_u32_e32 v17, 0x415, v41
	v_mov_b32_e32 v5, v8
	v_mad_u64_u32 v[8:9], s[0:1], s8, v17, 0
	v_mov_b32_e32 v16, v9
	v_mad_u64_u32 v[16:17], s[0:1], s9, v17, v[16:17]
	v_lshl_add_u64 v[4:5], v[4:5], 3, v[0:1]
	v_mov_b32_e32 v9, v16
	v_lshl_add_u64 v[8:9], v[8:9], 3, v[0:1]
	global_load_dwordx2 v[28:29], v[4:5], off
	global_load_dwordx2 v[26:27], v[8:9], off
	v_cmp_gt_u32_e64 s[0:1], 55, v41
	v_mov_b32_e32 v17, 0
	v_mov_b32_e32 v16, 0
                                        ; implicit-def: $vgpr5
	s_and_saveexec_b64 s[6:7], s[0:1]
	s_cbranch_execz .LBB0_14
; %bb.13:
	v_add_u32_e32 v9, 0x226, v41
	v_mad_u64_u32 v[4:5], s[0:1], s8, v9, 0
	v_mov_b32_e32 v8, v5
	v_mad_u64_u32 v[8:9], s[0:1], s9, v9, v[8:9]
	v_mov_b32_e32 v5, v8
	v_add_u32_e32 v17, 0x483, v41
	v_lshl_add_u64 v[8:9], v[4:5], 3, v[0:1]
	v_mad_u64_u32 v[4:5], s[0:1], s8, v17, 0
	v_mov_b32_e32 v16, v5
	v_mad_u64_u32 v[16:17], s[0:1], s9, v17, v[16:17]
	v_mov_b32_e32 v5, v16
	v_lshl_add_u64 v[22:23], v[4:5], 3, v[0:1]
	global_load_dwordx2 v[16:17], v[8:9], off
	global_load_dwordx2 v[4:5], v[22:23], off
.LBB0_14:
	s_or_b64 exec, exec, s[6:7]
	v_mov_b32_e32 v40, v41
.LBB0_15:
	s_or_b64 exec, exec, s[2:3]
	s_waitcnt vmcnt(8)
	v_sub_f32_e32 v9, v2, v10
	v_fma_f32 v8, v2, 2.0, -v9
	s_waitcnt vmcnt(6)
	v_sub_f32_e32 v31, v6, v12
	s_waitcnt vmcnt(4)
	v_sub_f32_e32 v33, v18, v24
	;; [unrolled: 2-line block ×4, first 2 shown]
	v_pk_add_f32 v[22:23], v[16:17], v[4:5] neg_lo:[0,1] neg_hi:[0,1]
	v_add_u32_e32 v2, 0x226, v41
	v_fma_f32 v30, v6, 2.0, -v31
	v_fma_f32 v32, v18, 2.0, -v33
	;; [unrolled: 1-line block ×5, first 2 shown]
	v_lshl_add_u32 v6, v41, 3, 0
	v_lshl_add_u32 v16, v45, 3, 0
	;; [unrolled: 1-line block ×5, first 2 shown]
	v_cmp_gt_u32_e64 s[2:3], 55, v41
	v_lshl_add_u32 v10, v2, 3, 0
	ds_write_b64 v6, v[8:9]
	ds_write_b64 v16, v[30:31]
	;; [unrolled: 1-line block ×5, first 2 shown]
	s_and_saveexec_b64 s[0:1], s[2:3]
	s_cbranch_execz .LBB0_17
; %bb.16:
	v_mov_b32_e32 v5, v22
	ds_write_b64 v10, v[4:5]
.LBB0_17:
	s_or_b64 exec, exec, s[0:1]
	v_lshlrev_b32_e32 v20, 2, v41
	v_sub_u32_e32 v24, v6, v20
	v_add_u32_e32 v2, 0x400, v24
	s_waitcnt lgkmcnt(0)
	s_barrier
	ds_read2_b32 v[34:35], v2 offset0:96 offset1:228
	v_add_u32_e32 v2, 0x800, v24
	ds_read2_b32 v[32:33], v2 offset0:82 offset1:214
	v_add_u32_e32 v2, 0xc00, v24
	ds_read2_b32 v[30:31], v2 offset0:68 offset1:200
	v_lshlrev_b32_e32 v2, 2, v45
	v_sub_u32_e32 v5, v16, v2
	ds_read2_b32 v[8:9], v24 offset1:242
	ds_read_b32 v5, v5
	ds_read_b32 v51, v24 offset:4312
	v_sub_u32_e32 v20, 0, v20
	v_cmp_gt_u32_e64 s[0:1], 22, v41
	v_add_u32_e32 v20, v6, v20
	v_lshlrev_b32_e32 v24, 2, v42
                                        ; implicit-def: $vgpr37
                                        ; implicit-def: $vgpr39
	s_and_saveexec_b64 s[6:7], s[0:1]
	s_cbranch_execz .LBB0_19
; %bb.18:
	v_add_u32_e32 v22, 0x720, v20
	v_sub_u32_e32 v4, v14, v24
	ds_read2_b32 v[38:39], v22 offset0:6 offset1:248
	v_add_u32_e32 v22, 0xec0, v20
	ds_read_b32 v4, v4
	ds_read2_b32 v[36:37], v22 offset0:2 offset1:244
	s_waitcnt lgkmcnt(2)
	v_mov_b32_e32 v22, v38
.LBB0_19:
	s_or_b64 exec, exec, s[6:7]
	v_sub_f32_e32 v47, v3, v11
	v_sub_u32_e32 v26, 0, v2
	v_fma_f32 v46, v3, 2.0, -v47
	v_sub_f32_e32 v49, v7, v13
	v_sub_f32_e32 v53, v19, v25
	;; [unrolled: 1-line block ×4, first 2 shown]
	v_fma_f32 v2, v17, 2.0, -v23
	v_fma_f32 v48, v7, 2.0, -v49
	;; [unrolled: 1-line block ×5, first 2 shown]
	s_waitcnt lgkmcnt(0)
	s_barrier
	ds_write_b64 v6, v[46:47]
	ds_write_b64 v16, v[48:49]
	;; [unrolled: 1-line block ×5, first 2 shown]
	s_and_saveexec_b64 s[6:7], s[2:3]
	s_cbranch_execz .LBB0_21
; %bb.20:
	v_mov_b32_e32 v3, v23
	ds_write_b64 v10, v[2:3]
.LBB0_21:
	s_or_b64 exec, exec, s[6:7]
	v_add_u32_e32 v3, 0x400, v20
	s_waitcnt lgkmcnt(0)
	s_barrier
	ds_read2_b32 v[18:19], v3 offset0:96 offset1:228
	v_add_u32_e32 v3, 0x800, v20
	ds_read2_b32 v[10:11], v3 offset0:82 offset1:214
	v_add_u32_e32 v3, 0xc00, v20
	v_add_u32_e32 v21, v16, v26
	ds_read2_b32 v[6:7], v20 offset1:242
	ds_read2_b32 v[12:13], v3 offset0:68 offset1:200
	ds_read_b32 v25, v21
	ds_read_b32 v52, v20 offset:4312
                                        ; implicit-def: $vgpr15
                                        ; implicit-def: $vgpr17
	s_and_saveexec_b64 s[2:3], s[0:1]
	s_cbranch_execz .LBB0_23
; %bb.22:
	v_add_u32_e32 v3, 0x720, v20
	v_sub_u32_e32 v2, v14, v24
	ds_read2_b32 v[16:17], v3 offset0:6 offset1:248
	v_add_u32_e32 v3, 0xec0, v20
	ds_read_b32 v2, v2
	ds_read2_b32 v[14:15], v3 offset0:2 offset1:244
	s_waitcnt lgkmcnt(2)
	v_mov_b32_e32 v23, v16
.LBB0_23:
	s_or_b64 exec, exec, s[2:3]
	v_and_b32_e32 v24, 1, v41
	v_lshlrev_b32_e32 v3, 5, v24
	global_load_dwordx4 v[54:57], v3, s[4:5]
	global_load_dwordx4 v[58:61], v3, s[4:5] offset:16
	s_waitcnt lgkmcnt(0)
	s_barrier
	s_waitcnt vmcnt(1)
	v_mul_f32_e32 v48, v19, v57
	s_waitcnt vmcnt(0)
	v_mul_f32_e32 v49, v11, v59
	v_mul_f32_e32 v47, v7, v55
	;; [unrolled: 1-line block ×15, first 2 shown]
	v_fmac_f32_e32 v48, v35, v56
	v_fmac_f32_e32 v49, v33, v58
	v_mul_f32_e32 v3, v18, v55
	v_mul_f32_e32 v38, v12, v59
	;; [unrolled: 1-line block ×4, first 2 shown]
	v_fmac_f32_e32 v16, v32, v56
	v_fmac_f32_e32 v47, v9, v54
	v_fma_f32 v32, v7, v54, -v53
	v_fma_f32 v33, v11, v58, -v63
	v_fmac_f32_e32 v50, v31, v60
	v_fma_f32 v31, v13, v60, -v64
	v_fma_f32 v11, v17, v56, -v57
	;; [unrolled: 1-line block ×3, first 2 shown]
	v_add_f32_e32 v15, v48, v49
	v_mul_f32_e32 v65, v34, v55
	v_mul_f32_e32 v67, v30, v59
	;; [unrolled: 1-line block ×4, first 2 shown]
	v_fmac_f32_e32 v3, v34, v54
	v_fma_f32 v19, v19, v56, -v62
	v_fmac_f32_e32 v38, v30, v58
	v_fmac_f32_e32 v26, v22, v54
	;; [unrolled: 1-line block ×4, first 2 shown]
	v_sub_f32_e32 v22, v32, v31
	v_sub_f32_e32 v30, v47, v48
	v_sub_f32_e32 v34, v50, v49
	v_sub_f32_e32 v36, v48, v47
	v_sub_f32_e32 v37, v49, v50
	v_fma_f32 v15, -0.5, v15, v8
	v_fma_f32 v18, v18, v54, -v65
	v_fma_f32 v7, v10, v56, -v66
	v_fmac_f32_e32 v46, v51, v60
	v_fma_f32 v13, v52, v60, -v68
	v_fma_f32 v10, v23, v54, -v55
	v_sub_f32_e32 v23, v19, v33
	v_add_f32_e32 v35, v47, v50
	v_add_f32_e32 v51, v16, v38
	;; [unrolled: 1-line block ×4, first 2 shown]
	v_fmamk_f32 v36, v22, 0xbf737871, v15
	v_fmac_f32_e32 v15, 0x3f737871, v22
	v_fma_f32 v9, v12, v58, -v67
	v_fmac_f32_e32 v27, v39, v56
	v_fma_f32 v12, v14, v58, -v59
	v_add_f32_e32 v14, v8, v47
	v_add_f32_e32 v39, v5, v3
	v_sub_f32_e32 v52, v18, v13
	v_fmac_f32_e32 v8, -0.5, v35
	v_fma_f32 v37, -0.5, v51, v5
	v_fmac_f32_e32 v36, 0xbf167918, v23
	v_fmac_f32_e32 v15, 0x3f167918, v23
	v_sub_f32_e32 v53, v7, v9
	v_add_f32_e32 v35, v39, v16
	v_fmamk_f32 v39, v23, 0x3f737871, v8
	v_fmac_f32_e32 v8, 0xbf737871, v23
	v_fmamk_f32 v51, v52, 0xbf737871, v37
	v_fmac_f32_e32 v36, 0x3e9e377a, v30
	v_fmac_f32_e32 v15, 0x3e9e377a, v30
	v_sub_f32_e32 v23, v3, v16
	v_sub_f32_e32 v30, v46, v38
	v_fmac_f32_e32 v37, 0x3f737871, v52
	v_fmac_f32_e32 v51, 0xbf167918, v53
	v_add_f32_e32 v23, v23, v30
	v_fmac_f32_e32 v37, 0x3f167918, v53
	v_fmac_f32_e32 v51, 0x3e9e377a, v23
	;; [unrolled: 1-line block ×3, first 2 shown]
	v_add_f32_e32 v23, v3, v46
	v_fmac_f32_e32 v39, 0xbf167918, v22
	v_fmac_f32_e32 v8, 0x3f167918, v22
	v_fmac_f32_e32 v5, -0.5, v23
	v_fmac_f32_e32 v39, 0x3e9e377a, v34
	v_fmac_f32_e32 v8, 0x3e9e377a, v34
	v_fmamk_f32 v23, v53, 0x3f737871, v5
	v_sub_f32_e32 v30, v16, v3
	v_sub_f32_e32 v34, v38, v46
	v_fmac_f32_e32 v5, 0xbf737871, v53
	v_fmac_f32_e32 v23, 0xbf167918, v52
	v_add_f32_e32 v30, v30, v34
	v_fmac_f32_e32 v5, 0x3f167918, v52
	v_fmac_f32_e32 v23, 0x3e9e377a, v30
	;; [unrolled: 1-line block ×3, first 2 shown]
	v_lshrrev_b32_e32 v30, 1, v41
	v_add_f32_e32 v14, v14, v48
	v_mul_u32_u24_e32 v30, 10, v30
	v_add_f32_e32 v14, v14, v49
	v_add_f32_e32 v35, v35, v38
	v_or_b32_e32 v30, v30, v24
	v_add_f32_e32 v14, v14, v50
	v_add_f32_e32 v22, v35, v46
	v_lshl_add_u32 v35, v30, 2, 0
	ds_write2_b32 v35, v14, v36 offset1:2
	ds_write2_b32 v35, v39, v8 offset0:4 offset1:6
	ds_write_b32 v35, v15 offset:32
	v_lshrrev_b32_e32 v8, 1, v45
	v_mul_lo_u32 v8, v8, 10
	v_or_b32_e32 v8, v8, v24
	v_lshl_add_u32 v36, v8, 2, 0
	v_lshrrev_b32_e32 v34, 1, v42
	ds_write2_b32 v36, v22, v51 offset1:2
	ds_write2_b32 v36, v23, v5 offset0:4 offset1:6
	ds_write_b32 v36, v37 offset:32
	s_and_saveexec_b64 s[2:3], s[0:1]
	s_cbranch_execz .LBB0_25
; %bb.24:
	v_add_f32_e32 v14, v26, v29
	v_sub_f32_e32 v5, v27, v26
	v_sub_f32_e32 v8, v28, v29
	v_fma_f32 v14, -0.5, v14, v4
	v_sub_f32_e32 v15, v11, v12
	v_add_f32_e32 v5, v5, v8
	v_sub_f32_e32 v8, v10, v17
	v_fmamk_f32 v22, v15, 0xbf737871, v14
	v_fmac_f32_e32 v14, 0x3f737871, v15
	v_fmac_f32_e32 v22, 0x3f167918, v8
	;; [unrolled: 1-line block ×5, first 2 shown]
	v_sub_f32_e32 v5, v26, v27
	v_sub_f32_e32 v23, v29, v28
	v_add_f32_e32 v5, v5, v23
	v_add_f32_e32 v23, v27, v28
	v_fma_f32 v23, -0.5, v23, v4
	v_fmamk_f32 v30, v8, 0x3f737871, v23
	v_fmac_f32_e32 v23, 0xbf737871, v8
	v_fmac_f32_e32 v30, 0x3f167918, v15
	;; [unrolled: 1-line block ×3, first 2 shown]
	v_add_f32_e32 v4, v4, v26
	v_fmac_f32_e32 v30, 0x3e9e377a, v5
	v_fmac_f32_e32 v23, 0x3e9e377a, v5
	v_add_f32_e32 v4, v4, v27
	v_mul_lo_u32 v5, v34, 10
	v_add_f32_e32 v4, v4, v28
	v_or_b32_e32 v5, v5, v24
	v_add_f32_e32 v4, v4, v29
	v_lshl_add_u32 v5, v5, 2, 0
	ds_write2_b32 v5, v4, v23 offset1:2
	ds_write2_b32 v5, v14, v22 offset0:4 offset1:6
	ds_write_b32 v5, v30 offset:32
.LBB0_25:
	s_or_b64 exec, exec, s[2:3]
	v_add_f32_e32 v4, v6, v32
	v_add_f32_e32 v4, v4, v19
	v_add_f32_e32 v4, v4, v33
	v_add_f32_e32 v37, v4, v31
	v_add_f32_e32 v4, v19, v33
	v_fma_f32 v39, -0.5, v4, v6
	v_sub_f32_e32 v4, v47, v50
	v_fmamk_f32 v45, v4, 0x3f737871, v39
	v_sub_f32_e32 v5, v48, v49
	v_sub_f32_e32 v8, v32, v19
	;; [unrolled: 1-line block ×3, first 2 shown]
	v_fmac_f32_e32 v39, 0xbf737871, v4
	v_fmac_f32_e32 v45, 0x3f167918, v5
	v_add_f32_e32 v8, v8, v14
	v_fmac_f32_e32 v39, 0xbf167918, v5
	v_fmac_f32_e32 v45, 0x3e9e377a, v8
	;; [unrolled: 1-line block ×3, first 2 shown]
	v_add_f32_e32 v8, v32, v31
	v_fmac_f32_e32 v6, -0.5, v8
	v_fmamk_f32 v47, v5, 0xbf737871, v6
	v_fmac_f32_e32 v6, 0x3f737871, v5
	v_fmac_f32_e32 v47, 0x3f167918, v4
	;; [unrolled: 1-line block ×3, first 2 shown]
	v_add_f32_e32 v4, v25, v18
	v_add_f32_e32 v4, v4, v7
	;; [unrolled: 1-line block ×3, first 2 shown]
	v_sub_f32_e32 v8, v19, v32
	v_sub_f32_e32 v14, v33, v31
	v_add_f32_e32 v33, v4, v13
	v_add_f32_e32 v4, v7, v9
	;; [unrolled: 1-line block ×3, first 2 shown]
	v_fma_f32 v48, -0.5, v4, v25
	v_sub_f32_e32 v3, v3, v46
	v_fmac_f32_e32 v47, 0x3e9e377a, v8
	v_fmac_f32_e32 v6, 0x3e9e377a, v8
	v_fmamk_f32 v46, v3, 0x3f737871, v48
	v_sub_f32_e32 v4, v16, v38
	v_sub_f32_e32 v5, v18, v7
	;; [unrolled: 1-line block ×3, first 2 shown]
	v_fmac_f32_e32 v48, 0xbf737871, v3
	v_fmac_f32_e32 v46, 0x3f167918, v4
	v_add_f32_e32 v5, v5, v8
	v_fmac_f32_e32 v48, 0xbf167918, v4
	v_fmac_f32_e32 v46, 0x3e9e377a, v5
	;; [unrolled: 1-line block ×3, first 2 shown]
	v_add_f32_e32 v5, v18, v13
	v_fmac_f32_e32 v25, -0.5, v5
	v_sub_f32_e32 v5, v7, v18
	v_sub_f32_e32 v7, v9, v13
	v_lshl_add_u32 v13, v42, 2, 0
	v_fmamk_f32 v38, v4, 0xbf737871, v25
	v_add_f32_e32 v5, v5, v7
	v_fmac_f32_e32 v25, 0x3f737871, v4
	s_waitcnt lgkmcnt(0)
	s_barrier
	v_lshl_add_u32 v15, v43, 2, 0
	v_lshl_add_u32 v18, v44, 2, 0
	ds_read_b32 v30, v13
	ds_read_b32 v23, v15
	;; [unrolled: 1-line block ×3, first 2 shown]
	v_lshl_add_u32 v7, v41, 2, 0
	ds_read_b32 v19, v20 offset:4400
	ds_read_b32 v14, v20
	ds_read_b32 v32, v21
	ds_read_b32 v31, v7 offset:2200
	v_fmac_f32_e32 v38, 0x3f167918, v3
	v_fmac_f32_e32 v25, 0xbf167918, v3
	v_add_u32_e32 v3, 0xa00, v20
	v_add_u32_e32 v16, 0xc00, v20
	v_fmac_f32_e32 v38, 0x3e9e377a, v5
	v_fmac_f32_e32 v25, 0x3e9e377a, v5
	ds_read2_b32 v[8:9], v3 offset0:20 offset1:130
	ds_read2_b32 v[4:5], v16 offset0:112 offset1:222
	s_waitcnt lgkmcnt(0)
	s_barrier
	ds_write2_b32 v35, v37, v45 offset1:2
	ds_write2_b32 v35, v47, v6 offset0:4 offset1:6
	ds_write_b32 v35, v39 offset:32
	ds_write2_b32 v36, v33, v46 offset1:2
	ds_write2_b32 v36, v38, v25 offset0:4 offset1:6
	ds_write_b32 v36, v48 offset:32
	s_and_saveexec_b64 s[2:3], s[0:1]
	s_cbranch_execz .LBB0_27
; %bb.26:
	v_add_f32_e32 v25, v11, v12
	v_fma_f32 v25, -0.5, v25, v2
	v_sub_f32_e32 v26, v26, v29
	v_fmamk_f32 v29, v26, 0x3f737871, v25
	v_sub_f32_e32 v27, v27, v28
	v_sub_f32_e32 v28, v10, v11
	;; [unrolled: 1-line block ×3, first 2 shown]
	v_fmac_f32_e32 v25, 0xbf737871, v26
	v_fmac_f32_e32 v29, 0x3f167918, v27
	v_add_f32_e32 v28, v28, v33
	v_fmac_f32_e32 v25, 0xbf167918, v27
	v_fmac_f32_e32 v29, 0x3e9e377a, v28
	;; [unrolled: 1-line block ×3, first 2 shown]
	v_add_f32_e32 v28, v10, v17
	v_add_f32_e32 v6, v2, v10
	v_fmac_f32_e32 v2, -0.5, v28
	v_add_f32_e32 v6, v6, v11
	v_fmamk_f32 v28, v27, 0xbf737871, v2
	v_sub_f32_e32 v10, v11, v10
	v_sub_f32_e32 v11, v12, v17
	v_fmac_f32_e32 v2, 0x3f737871, v27
	v_fmac_f32_e32 v28, 0x3f167918, v26
	v_add_f32_e32 v10, v10, v11
	v_fmac_f32_e32 v2, 0xbf167918, v26
	v_fmac_f32_e32 v28, 0x3e9e377a, v10
	;; [unrolled: 1-line block ×3, first 2 shown]
	v_mul_lo_u32 v10, v34, 10
	v_add_f32_e32 v6, v6, v12
	v_or_b32_e32 v10, v10, v24
	v_add_f32_e32 v6, v6, v17
	v_lshl_add_u32 v10, v10, 2, 0
	ds_write2_b32 v10, v6, v29 offset1:2
	ds_write2_b32 v10, v28, v2 offset0:4 offset1:6
	ds_write_b32 v10, v25 offset:32
.LBB0_27:
	s_or_b64 exec, exec, s[2:3]
	s_movk_i32 s0, 0xcd
	v_mul_lo_u16_sdwa v2, v41, s0 dst_sel:DWORD dst_unused:UNUSED_PAD src0_sel:BYTE_0 src1_sel:DWORD
	v_lshrrev_b16_e32 v2, 11, v2
	v_mul_lo_u16_e32 v6, 10, v2
	v_sub_u16_e32 v6, v41, v6
	v_mov_b32_e32 v10, 10
	v_mul_u32_u24_sdwa v10, v6, v10 dst_sel:DWORD dst_unused:UNUSED_PAD src0_sel:BYTE_0 src1_sel:DWORD
	v_lshlrev_b32_e32 v10, 3, v10
	s_waitcnt lgkmcnt(0)
	s_barrier
	global_load_dwordx4 v[24:27], v10, s[4:5] offset:64
	global_load_dwordx4 v[34:37], v10, s[4:5] offset:80
	global_load_dwordx4 v[42:45], v10, s[4:5] offset:96
	global_load_dwordx4 v[46:49], v10, s[4:5] offset:112
	global_load_dwordx4 v[50:53], v10, s[4:5] offset:128
	ds_read_b32 v12, v13
	ds_read_b32 v17, v15
	;; [unrolled: 1-line block ×4, first 2 shown]
	ds_read_b32 v39, v7 offset:2200
	ds_read2_b32 v[10:11], v3 offset0:20 offset1:130
	ds_read2_b32 v[28:29], v16 offset0:112 offset1:222
	ds_read_b32 v54, v20
	ds_read_b32 v55, v20 offset:4400
	s_mov_b32 s2, 0x3f575c64
	s_mov_b32 s3, 0xbf0a6770
	;; [unrolled: 1-line block ×9, first 2 shown]
	v_mul_u32_u24_e32 v2, 0x1b8, v2
	s_waitcnt lgkmcnt(0)
	s_barrier
	s_mov_b32 s1, 0x3f0a6770
	s_mov_b32 s11, 0xbf68dda4
	;; [unrolled: 1-line block ×5, first 2 shown]
	s_waitcnt vmcnt(4)
	v_mul_f32_e32 v56, v38, v25
	v_mul_f32_e32 v25, v32, v25
	;; [unrolled: 1-line block ×4, first 2 shown]
	s_waitcnt vmcnt(0)
	v_mul_f32_e32 v65, v55, v53
	v_fmac_f32_e32 v56, v32, v24
	v_fma_f32 v24, v38, v24, -v25
	v_mul_f32_e32 v58, v17, v35
	v_mul_f32_e32 v35, v23, v35
	;; [unrolled: 1-line block ×3, first 2 shown]
	v_fma_f32 v12, v12, v26, -v27
	v_fmac_f32_e32 v65, v19, v52
	v_add_f32_e32 v19, v54, v24
	v_mul_f32_e32 v59, v33, v37
	v_mul_f32_e32 v37, v22, v37
	v_fma_f32 v17, v17, v34, -v35
	v_add_f32_e32 v19, v19, v12
	v_mul_f32_e32 v60, v39, v43
	v_mul_f32_e32 v43, v31, v43
	v_fmac_f32_e32 v59, v22, v36
	v_fma_f32 v22, v33, v36, -v37
	v_add_f32_e32 v19, v19, v17
	v_mul_f32_e32 v61, v10, v45
	v_mul_f32_e32 v45, v8, v45
	v_fmac_f32_e32 v58, v23, v34
	;; [unrolled: 5-line block ×4, first 2 shown]
	v_fma_f32 v9, v11, v46, -v47
	v_fma_f32 v10, v55, v52, -v53
	v_add_f32_e32 v19, v19, v8
	v_mul_f32_e32 v64, v29, v51
	v_mul_f32_e32 v51, v5, v51
	v_fmac_f32_e32 v57, v30, v26
	v_fmac_f32_e32 v63, v4, v48
	v_fma_f32 v4, v28, v48, -v49
	v_add_f32_e32 v26, v24, v10
	v_sub_f32_e32 v24, v24, v10
	v_add_f32_e32 v19, v19, v9
	v_fmac_f32_e32 v64, v5, v50
	v_fma_f32 v5, v29, v50, -v51
	v_add_f32_e32 v25, v56, v65
	v_sub_f32_e32 v27, v56, v65
	v_mul_f32_e32 v28, 0xbf0a6770, v24
	v_mul_f32_e32 v29, 0x3f575c64, v26
	v_add_f32_e32 v19, v19, v4
	v_fmac_f32_e32 v60, v31, v42
	v_fmamk_f32 v30, v25, 0x3f575c64, v28
	v_fmamk_f32 v31, v27, 0x3f0a6770, v29
	v_fma_f32 v28, v25, s2, -v28
	v_add_f32_e32 v19, v19, v5
	v_fmac_f32_e32 v29, 0xbf0a6770, v27
	v_add_f32_e32 v19, v19, v10
	v_add_f32_e32 v10, v14, v28
	;; [unrolled: 1-line block ×3, first 2 shown]
	v_mul_f32_e32 v29, 0xbf68dda4, v24
	v_mul_f32_e32 v33, 0x3ed4b147, v26
	;; [unrolled: 1-line block ×8, first 2 shown]
	v_fmamk_f32 v32, v25, 0x3ed4b147, v29
	v_fma_f32 v29, v25, s10, -v29
	v_fmamk_f32 v36, v25, 0xbe11bafb, v35
	v_fma_f32 v35, v25, s12, -v35
	;; [unrolled: 2-line block ×3, first 2 shown]
	v_fmamk_f32 v45, v25, 0xbf75a155, v24
	v_fmamk_f32 v46, v27, 0x3e903f40, v26
	v_fma_f32 v24, v25, s16, -v24
	v_fmac_f32_e32 v26, 0xbe903f40, v27
	v_add_f32_e32 v11, v14, v56
	v_add_f32_e32 v30, v14, v30
	;; [unrolled: 1-line block ×12, first 2 shown]
	v_sub_f32_e32 v5, v12, v5
	v_add_f32_e32 v25, v57, v64
	v_mul_f32_e32 v12, 0xbf68dda4, v5
	v_fmamk_f32 v47, v25, 0x3ed4b147, v12
	v_fmamk_f32 v34, v27, 0x3f68dda4, v33
	v_fmac_f32_e32 v33, 0xbf68dda4, v27
	v_fmamk_f32 v38, v27, 0x3f7d64f0, v37
	v_fmac_f32_e32 v37, 0xbf7d64f0, v27
	;; [unrolled: 2-line block ×3, first 2 shown]
	v_sub_f32_e32 v27, v57, v64
	v_add_f32_e32 v30, v47, v30
	v_mul_f32_e32 v47, 0x3ed4b147, v26
	v_fmamk_f32 v48, v27, 0x3f68dda4, v47
	v_fma_f32 v12, v25, s10, -v12
	v_fmac_f32_e32 v47, 0xbf68dda4, v27
	v_add_f32_e32 v10, v12, v10
	v_add_f32_e32 v12, v47, v28
	v_mul_f32_e32 v28, 0xbf4178ce, v5
	v_fmamk_f32 v47, v25, 0xbf27a4f4, v28
	v_add_f32_e32 v31, v54, v31
	v_add_f32_e32 v32, v47, v32
	v_mul_f32_e32 v47, 0xbf27a4f4, v26
	v_add_f32_e32 v33, v54, v33
	v_add_f32_e32 v31, v48, v31
	v_fmamk_f32 v48, v27, 0x3f4178ce, v47
	v_fma_f32 v28, v25, s14, -v28
	v_fmac_f32_e32 v47, 0xbf4178ce, v27
	v_add_f32_e32 v28, v28, v29
	v_add_f32_e32 v29, v47, v33
	v_mul_f32_e32 v33, 0x3e903f40, v5
	v_fmamk_f32 v47, v25, 0xbf75a155, v33
	v_add_f32_e32 v34, v54, v34
	v_add_f32_e32 v36, v47, v36
	v_mul_f32_e32 v47, 0xbf75a155, v26
	v_add_f32_e32 v37, v54, v37
	v_add_f32_e32 v34, v48, v34
	;; [unrolled: 12-line block ×3, first 2 shown]
	v_fmamk_f32 v48, v27, 0xbf7d64f0, v47
	v_fma_f32 v37, v25, s12, -v37
	v_fmac_f32_e32 v47, 0x3f7d64f0, v27
	v_mul_f32_e32 v5, 0x3f0a6770, v5
	v_add_f32_e32 v37, v37, v39
	v_add_f32_e32 v39, v47, v43
	v_fmamk_f32 v43, v25, 0x3f575c64, v5
	v_mul_f32_e32 v26, 0x3f575c64, v26
	v_add_f32_e32 v43, v43, v45
	v_fmamk_f32 v45, v27, 0xbf0a6770, v26
	v_fma_f32 v5, v25, s2, -v5
	v_fmac_f32_e32 v26, 0x3f0a6770, v27
	v_add_f32_e32 v25, v17, v4
	v_sub_f32_e32 v4, v17, v4
	v_add_f32_e32 v5, v5, v14
	v_add_f32_e32 v14, v26, v24
	;; [unrolled: 1-line block ×3, first 2 shown]
	v_mul_f32_e32 v17, 0xbf7d64f0, v4
	v_fmamk_f32 v27, v24, 0xbe11bafb, v17
	v_add_f32_e32 v46, v54, v46
	v_sub_f32_e32 v26, v58, v63
	v_add_f32_e32 v27, v27, v30
	v_mul_f32_e32 v30, 0xbe11bafb, v25
	v_fma_f32 v17, v24, s12, -v17
	v_add_f32_e32 v45, v45, v46
	v_fmamk_f32 v46, v26, 0x3f7d64f0, v30
	v_add_f32_e32 v10, v17, v10
	v_fmac_f32_e32 v30, 0xbf7d64f0, v26
	v_mul_f32_e32 v17, 0x3e903f40, v4
	v_add_f32_e32 v12, v30, v12
	v_fmamk_f32 v30, v24, 0xbf75a155, v17
	v_add_f32_e32 v30, v30, v32
	v_mul_f32_e32 v32, 0xbf75a155, v25
	v_add_f32_e32 v31, v46, v31
	v_fmamk_f32 v46, v26, 0xbe903f40, v32
	v_fma_f32 v17, v24, s16, -v17
	v_fmac_f32_e32 v32, 0x3e903f40, v26
	v_add_f32_e32 v17, v17, v28
	v_add_f32_e32 v28, v32, v29
	v_mul_f32_e32 v29, 0x3f68dda4, v4
	v_fmamk_f32 v32, v24, 0x3ed4b147, v29
	v_add_f32_e32 v32, v32, v36
	v_mul_f32_e32 v36, 0x3ed4b147, v25
	v_add_f32_e32 v34, v46, v34
	v_fmamk_f32 v46, v26, 0xbf68dda4, v36
	v_fma_f32 v29, v24, s10, -v29
	v_fmac_f32_e32 v36, 0x3f68dda4, v26
	v_add_f32_e32 v29, v29, v33
	v_add_f32_e32 v33, v36, v35
	v_mul_f32_e32 v35, 0xbf0a6770, v4
	v_fmamk_f32 v36, v24, 0x3f575c64, v35
	v_add_f32_e32 v36, v36, v42
	v_mul_f32_e32 v42, 0x3f575c64, v25
	v_add_f32_e32 v38, v46, v38
	v_fmamk_f32 v46, v26, 0x3f0a6770, v42
	v_fma_f32 v35, v24, s2, -v35
	v_fmac_f32_e32 v42, 0xbf0a6770, v26
	v_mul_f32_e32 v4, 0xbf4178ce, v4
	v_mul_f32_e32 v25, 0xbf27a4f4, v25
	v_add_f32_e32 v35, v35, v37
	v_add_f32_e32 v37, v42, v39
	v_fmamk_f32 v39, v24, 0xbf27a4f4, v4
	v_fmamk_f32 v42, v26, 0x3f4178ce, v25
	v_fma_f32 v4, v24, s14, -v4
	v_fmac_f32_e32 v25, 0xbf4178ce, v26
	v_add_f32_e32 v24, v22, v9
	v_sub_f32_e32 v9, v22, v9
	v_add_f32_e32 v4, v4, v5
	v_add_f32_e32 v5, v25, v14
	;; [unrolled: 1-line block ×3, first 2 shown]
	v_mul_f32_e32 v22, 0xbf4178ce, v9
	v_fmamk_f32 v26, v14, 0xbf27a4f4, v22
	v_sub_f32_e32 v25, v59, v62
	v_add_f32_e32 v26, v26, v27
	v_mul_f32_e32 v27, 0xbf27a4f4, v24
	v_fma_f32 v22, v14, s14, -v22
	v_add_f32_e32 v39, v39, v43
	v_fmamk_f32 v43, v25, 0x3f4178ce, v27
	v_add_f32_e32 v10, v22, v10
	v_fmac_f32_e32 v27, 0xbf4178ce, v25
	v_mul_f32_e32 v22, 0x3f7d64f0, v9
	v_add_f32_e32 v12, v27, v12
	v_fmamk_f32 v27, v14, 0xbe11bafb, v22
	v_add_f32_e32 v27, v27, v30
	v_mul_f32_e32 v30, 0xbe11bafb, v24
	v_add_f32_e32 v31, v43, v31
	v_fmamk_f32 v43, v25, 0xbf7d64f0, v30
	v_fma_f32 v22, v14, s12, -v22
	v_fmac_f32_e32 v30, 0x3f7d64f0, v25
	v_add_f32_e32 v17, v22, v17
	v_add_f32_e32 v22, v30, v28
	v_mul_f32_e32 v28, 0xbf0a6770, v9
	v_fmamk_f32 v30, v14, 0x3f575c64, v28
	v_add_f32_e32 v30, v30, v32
	v_mul_f32_e32 v32, 0x3f575c64, v24
	v_add_f32_e32 v34, v43, v34
	v_fmamk_f32 v43, v25, 0x3f0a6770, v32
	v_fma_f32 v28, v14, s2, -v28
	v_fmac_f32_e32 v32, 0xbf0a6770, v25
	v_add_f32_e32 v28, v28, v29
	v_add_f32_e32 v29, v32, v33
	v_mul_f32_e32 v32, 0xbe903f40, v9
	v_fmamk_f32 v33, v14, 0xbf75a155, v32
	v_add_f32_e32 v33, v33, v36
	v_mul_f32_e32 v36, 0xbf75a155, v24
	v_add_f32_e32 v38, v43, v38
	v_fmamk_f32 v43, v25, 0x3e903f40, v36
	v_fma_f32 v32, v14, s16, -v32
	v_fmac_f32_e32 v36, 0xbe903f40, v25
	v_mul_f32_e32 v9, 0x3f68dda4, v9
	v_add_f32_e32 v32, v32, v35
	v_add_f32_e32 v35, v36, v37
	v_fmamk_f32 v36, v14, 0x3ed4b147, v9
	v_fma_f32 v9, v14, s10, -v9
	v_add_f32_e32 v14, v23, v8
	v_sub_f32_e32 v8, v23, v8
	v_mul_f32_e32 v24, 0x3ed4b147, v24
	v_add_f32_e32 v4, v9, v4
	v_add_f32_e32 v9, v60, v61
	v_mul_f32_e32 v23, 0xbe903f40, v8
	v_fmamk_f32 v37, v25, 0xbf68dda4, v24
	v_fmac_f32_e32 v24, 0x3f68dda4, v25
	v_fmamk_f32 v25, v9, 0xbf75a155, v23
	v_add_f32_e32 v5, v24, v5
	v_sub_f32_e32 v24, v60, v61
	v_add_f32_e32 v25, v25, v26
	v_mul_f32_e32 v26, 0xbf75a155, v14
	v_add_f32_e32 v36, v36, v39
	v_fmamk_f32 v39, v24, 0x3e903f40, v26
	v_fma_f32 v23, v9, s16, -v23
	v_fmac_f32_e32 v26, 0xbe903f40, v24
	v_add_f32_e32 v10, v23, v10
	v_add_f32_e32 v23, v26, v12
	v_mul_f32_e32 v12, 0x3f0a6770, v8
	v_fmamk_f32 v26, v9, 0x3f575c64, v12
	v_add_f32_e32 v26, v26, v27
	v_mul_f32_e32 v27, 0x3f575c64, v14
	v_fma_f32 v12, v9, s2, -v12
	v_add_f32_e32 v31, v39, v31
	v_fmamk_f32 v39, v24, 0xbf0a6770, v27
	v_add_f32_e32 v12, v12, v17
	v_fmac_f32_e32 v27, 0x3f0a6770, v24
	v_mul_f32_e32 v17, 0xbf4178ce, v8
	v_add_f32_e32 v22, v27, v22
	v_fmamk_f32 v27, v9, 0xbf27a4f4, v17
	v_add_f32_e32 v27, v27, v30
	v_mul_f32_e32 v30, 0xbf27a4f4, v14
	v_add_f32_e32 v11, v11, v57
	v_add_f32_e32 v34, v39, v34
	v_fmamk_f32 v39, v24, 0x3f4178ce, v30
	v_fma_f32 v17, v9, s14, -v17
	v_fmac_f32_e32 v30, 0xbf4178ce, v24
	v_add_f32_e32 v11, v11, v58
	v_add_f32_e32 v17, v17, v28
	;; [unrolled: 1-line block ×3, first 2 shown]
	v_mul_f32_e32 v29, 0x3f68dda4, v8
	v_add_f32_e32 v11, v11, v59
	v_fmamk_f32 v30, v9, 0x3ed4b147, v29
	v_add_f32_e32 v11, v11, v60
	v_add_f32_e32 v30, v30, v33
	v_mul_f32_e32 v33, 0x3ed4b147, v14
	v_add_f32_e32 v11, v11, v61
	v_add_f32_e32 v38, v39, v38
	v_fmamk_f32 v39, v24, 0xbf68dda4, v33
	v_fma_f32 v29, v9, s10, -v29
	v_fmac_f32_e32 v33, 0x3f68dda4, v24
	v_mul_f32_e32 v14, 0xbe11bafb, v14
	v_add_f32_e32 v11, v11, v62
	v_add_f32_e32 v29, v29, v32
	v_add_f32_e32 v32, v33, v35
	v_mul_f32_e32 v8, 0xbf7d64f0, v8
	v_fmamk_f32 v35, v24, 0x3f7d64f0, v14
	v_fmac_f32_e32 v14, 0xbf7d64f0, v24
	v_add_f32_e32 v11, v11, v63
	v_fmamk_f32 v33, v9, 0xbe11bafb, v8
	v_fma_f32 v8, v9, s12, -v8
	v_add_f32_e32 v9, v14, v5
	v_mov_b32_e32 v5, 2
	v_add_f32_e32 v11, v11, v64
	v_lshlrev_b32_sdwa v5, v5, v6 dst_sel:DWORD dst_unused:UNUSED_PAD src0_sel:DWORD src1_sel:BYTE_0
	v_add_f32_e32 v11, v11, v65
	v_add_f32_e32 v4, v8, v4
	v_add3_u32 v24, 0, v2, v5
	v_add_f32_e32 v33, v33, v36
	ds_write2_b32 v24, v11, v25 offset1:10
	ds_write2_b32 v24, v26, v27 offset0:20 offset1:30
	ds_write2_b32 v24, v30, v33 offset0:40 offset1:50
	ds_write2_b32 v24, v4, v29 offset0:60 offset1:70
	ds_write2_b32 v24, v17, v12 offset0:80 offset1:90
	ds_write_b32 v24, v10 offset:400
	s_waitcnt lgkmcnt(0)
	s_barrier
	ds_read_b32 v12, v13
	ds_read_b32 v6, v15
	ds_read_b32 v4, v18
	ds_read_b32 v14, v20 offset:4400
	ds_read_b32 v2, v20
	ds_read_b32 v5, v21
	ds_read_b32 v8, v7 offset:2200
	ds_read2_b32 v[10:11], v3 offset0:20 offset1:130
	ds_read2_b32 v[16:17], v16 offset0:112 offset1:222
	v_add_f32_e32 v44, v54, v44
	v_add_f32_e32 v44, v48, v44
	;; [unrolled: 1-line block ×8, first 2 shown]
	s_waitcnt lgkmcnt(0)
	s_barrier
	ds_write2_b32 v24, v19, v31 offset1:10
	ds_write2_b32 v24, v34, v38 offset0:20 offset1:30
	ds_write2_b32 v24, v39, v35 offset0:40 offset1:50
	;; [unrolled: 1-line block ×4, first 2 shown]
	ds_write_b32 v24, v23 offset:400
	s_waitcnt lgkmcnt(0)
	s_barrier
	s_and_saveexec_b64 s[22:23], vcc
	s_cbranch_execz .LBB0_29
; %bb.28:
	v_mul_u32_u24_e32 v3, 10, v41
	v_lshlrev_b32_e32 v3, 3, v3
	global_load_dwordx4 v[22:25], v3, s[4:5] offset:928
	global_load_dwordx4 v[26:29], v3, s[4:5] offset:912
	;; [unrolled: 1-line block ×5, first 2 shown]
	v_add_u32_e32 v9, 0xc00, v20
	ds_read_b32 v38, v20 offset:4400
	ds_read_b32 v3, v20
	ds_read_b32 v46, v13
	;; [unrolled: 1-line block ×4, first 2 shown]
	v_add_u32_e32 v13, 0xa00, v20
	ds_read_b32 v41, v21
	ds_read_b32 v20, v7 offset:2200
	ds_read2_b32 v[56:57], v9 offset0:112 offset1:222
	ds_read2_b32 v[58:59], v13 offset0:20 offset1:130
	v_mad_u64_u32 v[54:55], s[4:5], s8, v40, 0
	v_mov_b32_e32 v60, v55
	v_mov_b32_e32 v52, v11
	s_waitcnt lgkmcnt(0)
	v_mov_b32_e32 v66, v59
	v_mad_u64_u32 v[60:61], s[4:5], s9, v40, v[60:61]
	v_mov_b32_e32 v55, v60
	v_mov_b32_e32 v60, v57
	;; [unrolled: 1-line block ×3, first 2 shown]
	v_add_u32_e32 v65, 0x6e, v40
	v_mad_u64_u32 v[62:63], s[4:5], s8, v65, 0
	v_mov_b32_e32 v64, v63
	v_lshl_add_u64 v[54:55], v[54:55], 3, v[0:1]
	s_mov_b32 s22, s3
	s_mov_b32 s23, s2
	;; [unrolled: 1-line block ×16, first 2 shown]
	s_waitcnt vmcnt(4)
	v_pk_mul_f32 v[38:39], v[38:39], v[24:25] op_sel_hi:[0,1]
	s_waitcnt vmcnt(3)
	v_pk_mul_f32 v[66:67], v[66:67], v[26:27] op_sel_hi:[0,1]
	s_waitcnt vmcnt(2)
	v_mul_f32_e32 v68, v5, v30
	v_mul_f32_e32 v5, v5, v31
	v_mov_b32_e32 v70, v33
	v_mov_b32_e32 v71, v32
	v_pk_mul_f32 v[12:13], v[12:13], v[32:33] op_sel_hi:[0,1]
	s_waitcnt vmcnt(1)
	v_pk_mul_f32 v[32:33], v[48:49], v[34:35] op_sel_hi:[0,1]
	s_waitcnt vmcnt(0)
	v_pk_mul_f32 v[20:21], v[20:21], v[42:43] op_sel_hi:[0,1]
	v_pk_fma_f32 v[72:73], v[52:53], v[26:27], v[66:67] op_sel:[0,0,1] op_sel_hi:[0,1,0]
	v_pk_fma_f32 v[52:53], v[52:53], v[26:27], v[66:67] op_sel:[0,0,1] op_sel_hi:[0,1,0] neg_lo:[1,0,0] neg_hi:[1,0,0]
	v_fma_f32 v69, v41, v30, -v5
	v_fmac_f32_e32 v68, v41, v31
	v_pk_fma_f32 v[26:27], v[46:47], v[70:71], v[12:13] op_sel_hi:[0,1,1]
	v_pk_fma_f32 v[30:31], v[46:47], v[70:71], v[12:13] op_sel_hi:[0,1,1] neg_lo:[0,0,1] neg_hi:[0,0,1]
	v_pk_mul_f32 v[60:61], v[60:61], v[22:23] op_sel_hi:[0,1]
	v_pk_mul_f32 v[56:57], v[56:57], v[28:29] op_sel_hi:[0,1]
	;; [unrolled: 1-line block ×3, first 2 shown]
	v_pk_fma_f32 v[46:47], v[6:7], v[34:35], v[32:33] op_sel:[0,0,1] op_sel_hi:[0,1,0]
	v_pk_fma_f32 v[66:67], v[6:7], v[34:35], v[32:33] op_sel:[0,0,1] op_sel_hi:[0,1,0] neg_lo:[1,0,0] neg_hi:[1,0,0]
	v_pk_fma_f32 v[78:79], v[8:9], v[42:43], v[20:21] op_sel:[0,0,1] op_sel_hi:[0,1,0]
	v_pk_fma_f32 v[80:81], v[8:9], v[42:43], v[20:21] op_sel:[0,0,1] op_sel_hi:[0,1,0] neg_lo:[1,0,0] neg_hi:[1,0,0]
	v_mov_b32_e32 v8, v26
	v_mov_b32_e32 v9, v31
	v_pk_add_f32 v[12:13], v[2:3], v[68:69]
	v_pk_mul_f32 v[48:49], v[58:59], v[44:45] op_sel_hi:[0,1]
	v_pk_fma_f32 v[58:59], v[14:15], v[24:25], v[38:39] op_sel:[0,0,1] op_sel_hi:[0,1,0]
	v_pk_fma_f32 v[14:15], v[14:15], v[24:25], v[38:39] op_sel:[0,0,1] op_sel_hi:[0,1,0] neg_lo:[1,0,0] neg_hi:[1,0,0]
	v_pk_fma_f32 v[38:39], v[50:51], v[22:23], v[60:61] op_sel:[0,0,1] op_sel_hi:[0,1,0]
	v_pk_fma_f32 v[50:51], v[50:51], v[22:23], v[60:61] op_sel:[0,0,1] op_sel_hi:[0,1,0] neg_lo:[1,0,0] neg_hi:[1,0,0]
	;; [unrolled: 2-line block ×4, first 2 shown]
	v_mov_b32_e32 v16, v46
	v_mov_b32_e32 v17, v67
	v_pk_add_f32 v[8:9], v[12:13], v[8:9]
	v_mov_b32_e32 v18, v70
	v_mov_b32_e32 v19, v75
	v_pk_add_f32 v[8:9], v[8:9], v[16:17]
	v_pk_fma_f32 v[76:77], v[10:11], v[44:45], v[48:49] op_sel:[0,0,1] op_sel_hi:[0,1,0]
	v_pk_fma_f32 v[48:49], v[10:11], v[44:45], v[48:49] op_sel:[0,0,1] op_sel_hi:[0,1,0] neg_lo:[1,0,0] neg_hi:[1,0,0]
	v_mov_b32_e32 v20, v78
	v_mov_b32_e32 v21, v81
	v_pk_add_f32 v[8:9], v[8:9], v[18:19]
	v_mov_b32_e32 v22, v76
	v_mov_b32_e32 v23, v49
	v_pk_add_f32 v[8:9], v[8:9], v[20:21]
	;; [unrolled: 3-line block ×6, first 2 shown]
	v_add_u32_e32 v9, 0x14a, v40
	v_pk_add_f32 v[4:5], v[4:5], v[6:7]
	global_store_dwordx2 v[54:55], v[4:5], off
	v_mad_u64_u32 v[4:5], s[4:5], s9, v65, v[64:65]
	v_add_u32_e32 v7, 0xdc, v40
	v_mov_b32_e32 v63, v4
	v_mad_u64_u32 v[4:5], s[4:5], s8, v7, 0
	v_mov_b32_e32 v6, v5
	v_mad_u64_u32 v[6:7], s[4:5], s9, v7, v[6:7]
	;; [unrolled: 2-line block ×4, first 2 shown]
	v_add_u32_e32 v11, 0x1b8, v40
	v_mov_b32_e32 v7, v8
	v_mad_u64_u32 v[8:9], s[4:5], s8, v11, 0
	v_mov_b32_e32 v10, v9
	v_mad_u64_u32 v[10:11], s[4:5], s9, v11, v[10:11]
	v_add_u32_e32 v13, 0x226, v40
	v_mov_b32_e32 v9, v10
	v_mad_u64_u32 v[10:11], s[4:5], s8, v13, 0
	v_mov_b32_e32 v12, v11
	v_mad_u64_u32 v[12:13], s[4:5], s9, v13, v[12:13]
	;; [unrolled: 5-line block ×3, first 2 shown]
	v_add_u32_e32 v17, 0x302, v40
	v_mad_u64_u32 v[18:19], s[4:5], s8, v17, 0
	v_mov_b32_e32 v13, v16
	v_mov_b32_e32 v16, v19
	v_mad_u64_u32 v[16:17], s[4:5], s9, v17, v[16:17]
	v_add_u32_e32 v17, 0x370, v40
	v_mad_u64_u32 v[20:21], s[4:5], s8, v17, 0
	v_mov_b32_e32 v19, v16
	v_mov_b32_e32 v16, v21
	v_mad_u64_u32 v[16:17], s[4:5], s9, v17, v[16:17]
	;; [unrolled: 5-line block ×4, first 2 shown]
	v_mov_b32_e32 v25, v16
	v_lshl_add_u64 v[54:55], v[62:63], 3, v[0:1]
	v_lshl_add_u64 v[62:63], v[4:5], 3, v[0:1]
	;; [unrolled: 1-line block ×6, first 2 shown]
	v_pk_add_f32 v[20:21], v[68:69], v[58:59]
	v_pk_add_f32 v[18:19], v[68:69], v[58:59] neg_lo:[0,1] neg_hi:[0,1]
	v_lshl_add_u64 v[36:37], v[6:7], 3, v[0:1]
	v_lshl_add_u64 v[6:7], v[12:13], 3, v[0:1]
	;; [unrolled: 1-line block ×4, first 2 shown]
	v_mov_b32_e32 v21, v18
	v_mov_b32_e32 v18, v69
	;; [unrolled: 1-line block ×3, first 2 shown]
	v_pk_add_f32 v[22:23], v[18:19], v[14:15] op_sel:[0,1] neg_lo:[0,1] neg_hi:[0,1]
	v_pk_add_f32 v[14:15], v[24:25], v[14:15] op_sel_hi:[0,1]
	v_pk_add_f32 v[24:25], v[26:27], v[38:39]
	v_pk_add_f32 v[18:19], v[26:27], v[38:39] neg_lo:[0,1] neg_hi:[0,1]
	v_pk_add_f32 v[28:29], v[30:31], v[50:51] neg_lo:[0,1] neg_hi:[0,1]
	v_mov_b32_e32 v25, v18
	v_pk_add_f32 v[18:19], v[30:31], v[50:51]
	v_pk_mul_f32 v[50:51], v[20:21], s[2:3]
	v_mov_b32_e32 v14, v22
	v_pk_fma_f32 v[26:27], v[22:23], s[22:23], v[50:51] neg_lo:[1,0,0] neg_hi:[1,0,0]
	v_pk_fma_f32 v[58:59], v[14:15], s[22:23], v[50:51]
	v_mov_b32_e32 v18, v29
	v_pk_mul_f32 v[64:65], v[24:25], s[10:11]
	v_mov_b32_e32 v27, v59
	v_pk_fma_f32 v[30:31], v[28:29], s[28:29], v[64:65] op_sel:[1,0,0] neg_lo:[1,0,0] neg_hi:[1,0,0]
	v_pk_fma_f32 v[68:69], v[18:19], s[28:29], v[64:65]
	v_pk_add_f32 v[26:27], v[2:3], v[26:27]
	v_mov_b32_e32 v31, v69
	v_pk_add_f32 v[30:31], v[26:27], v[30:31]
	v_pk_add_f32 v[32:33], v[46:47], v[60:61]
	v_pk_add_f32 v[26:27], v[46:47], v[60:61] neg_lo:[0,1] neg_hi:[0,1]
	v_pk_add_f32 v[34:35], v[66:67], v[56:57] neg_lo:[0,1] neg_hi:[0,1]
	v_mov_b32_e32 v33, v26
	v_pk_add_f32 v[26:27], v[66:67], v[56:57]
	s_mov_b32 s4, s13
	v_mov_b32_e32 v26, v35
	s_mov_b32 s5, s12
	v_pk_mul_f32 v[46:47], v[32:33], s[12:13]
	v_pk_add_f32 v[42:43], v[70:71], v[72:73]
	v_pk_fma_f32 v[38:39], v[34:35], s[4:5], v[46:47] op_sel:[1,0,0] neg_lo:[1,0,0] neg_hi:[1,0,0]
	v_pk_fma_f32 v[56:57], v[26:27], s[4:5], v[46:47]
	v_pk_add_f32 v[44:45], v[74:75], v[52:53] neg_lo:[0,1] neg_hi:[0,1]
	v_mov_b32_e32 v39, v57
	v_pk_add_f32 v[38:39], v[30:31], v[38:39]
	v_pk_add_f32 v[30:31], v[70:71], v[72:73] neg_lo:[0,1] neg_hi:[0,1]
	s_mov_b32 s8, s15
	v_mov_b32_e32 v43, v30
	v_pk_add_f32 v[30:31], v[74:75], v[52:53]
	s_mov_b32 s9, s14
	v_mov_b32_e32 v30, v45
	v_pk_mul_f32 v[52:53], v[42:43], s[14:15]
	v_pk_fma_f32 v[50:51], v[14:15], s[22:23], v[50:51] neg_lo:[0,0,1] neg_hi:[0,0,1]
	v_pk_fma_f32 v[40:41], v[44:45], s[8:9], v[52:53] op_sel:[1,0,0] neg_lo:[1,0,0] neg_hi:[1,0,0]
	v_pk_fma_f32 v[60:61], v[30:31], s[8:9], v[52:53]
	v_mov_b32_e32 v59, v51
	v_mov_b32_e32 v41, v61
	v_pk_fma_f32 v[50:51], v[18:19], s[28:29], v[64:65] neg_lo:[0,0,1] neg_hi:[0,0,1]
	v_pk_add_f32 v[40:41], v[38:39], v[40:41]
	v_pk_add_f32 v[66:67], v[78:79], v[76:77]
	v_pk_add_f32 v[38:39], v[78:79], v[76:77] neg_lo:[0,1] neg_hi:[0,1]
	v_mov_b32_e32 v69, v51
	v_pk_add_f32 v[50:51], v[2:3], v[58:59]
	v_pk_fma_f32 v[46:47], v[26:27], s[4:5], v[46:47] neg_lo:[0,0,1] neg_hi:[0,0,1]
	v_mov_b32_e32 v67, v38
	v_pk_add_f32 v[70:71], v[80:81], v[48:49] neg_lo:[0,1] neg_hi:[0,1]
	v_pk_add_f32 v[38:39], v[80:81], v[48:49]
	v_pk_add_f32 v[50:51], v[50:51], v[68:69]
	v_mov_b32_e32 v57, v47
	v_mov_b32_e32 v38, v71
	v_pk_mul_f32 v[48:49], v[66:67], s[16:17]
	v_pk_add_f32 v[46:47], v[50:51], v[56:57]
	v_pk_fma_f32 v[50:51], v[30:31], s[8:9], v[52:53] neg_lo:[0,0,1] neg_hi:[0,0,1]
	v_pk_fma_f32 v[72:73], v[70:71], s[24:25], v[48:49] op_sel:[1,0,0] neg_lo:[1,0,0] neg_hi:[1,0,0]
	v_pk_fma_f32 v[74:75], v[38:39], s[24:25], v[48:49]
	v_mov_b32_e32 v61, v51
	v_pk_fma_f32 v[48:49], v[38:39], s[24:25], v[48:49] neg_lo:[0,0,1] neg_hi:[0,0,1]
	v_mov_b32_e32 v73, v75
	v_pk_add_f32 v[46:47], v[46:47], v[60:61]
	v_mov_b32_e32 v75, v49
	v_pk_add_f32 v[46:47], v[46:47], v[74:75]
	global_store_dwordx2 v[54:55], v[46:47], off
	v_pk_mul_f32 v[46:47], v[20:21], s[10:11]
	v_pk_mul_f32 v[48:49], v[24:25], s[14:15]
	v_pk_fma_f32 v[50:51], v[22:23], s[28:29], v[46:47] neg_lo:[1,0,0] neg_hi:[1,0,0]
	v_pk_fma_f32 v[52:53], v[14:15], s[28:29], v[46:47]
	v_pk_fma_f32 v[54:55], v[28:29], s[8:9], v[48:49] op_sel:[1,0,0] neg_lo:[1,0,0] neg_hi:[1,0,0]
	v_mov_b32_e32 v51, v53
	v_pk_fma_f32 v[56:57], v[18:19], s[8:9], v[48:49]
	v_pk_add_f32 v[50:51], v[2:3], v[50:51]
	v_mov_b32_e32 v55, v57
	v_pk_add_f32 v[50:51], v[50:51], v[54:55]
	v_pk_mul_f32 v[54:55], v[32:33], s[20:21]
	v_pk_fma_f32 v[46:47], v[14:15], s[28:29], v[46:47] neg_lo:[0,0,1] neg_hi:[0,0,1]
	v_pk_fma_f32 v[58:59], v[34:35], s[34:35], v[54:55] op_sel:[1,0,0] neg_lo:[1,0,0] neg_hi:[1,0,0]
	v_pk_fma_f32 v[60:61], v[26:27], s[34:35], v[54:55]
	v_mov_b32_e32 v53, v47
	v_mov_b32_e32 v59, v61
	v_pk_add_f32 v[50:51], v[50:51], v[58:59]
	v_pk_mul_f32 v[58:59], v[42:43], s[18:19]
	v_pk_fma_f32 v[46:47], v[18:19], s[8:9], v[48:49] neg_lo:[0,0,1] neg_hi:[0,0,1]
	v_pk_fma_f32 v[64:65], v[44:45], s[30:31], v[58:59] op_sel:[1,0,0] neg_lo:[1,0,0] neg_hi:[1,0,0]
	v_pk_fma_f32 v[68:69], v[30:31], s[30:31], v[58:59]
	v_mov_b32_e32 v57, v47
	v_mov_b32_e32 v65, v69
	v_pk_add_f32 v[46:47], v[2:3], v[52:53]
	v_pk_fma_f32 v[48:49], v[26:27], s[34:35], v[54:55] neg_lo:[0,0,1] neg_hi:[0,0,1]
	v_pk_add_f32 v[50:51], v[50:51], v[64:65]
	v_pk_mul_f32 v[64:65], v[66:67], s[0:1]
	v_pk_add_f32 v[46:47], v[46:47], v[56:57]
	v_mov_b32_e32 v61, v49
	v_pk_fma_f32 v[48:49], v[30:31], s[30:31], v[58:59] neg_lo:[0,0,1] neg_hi:[0,0,1]
	v_pk_add_f32 v[40:41], v[40:41], v[72:73]
	v_pk_fma_f32 v[72:73], v[70:71], s[26:27], v[64:65] op_sel:[1,0,0] neg_lo:[1,0,0] neg_hi:[1,0,0]
	v_pk_fma_f32 v[74:75], v[38:39], s[26:27], v[64:65]
	v_pk_add_f32 v[46:47], v[46:47], v[60:61]
	v_mov_b32_e32 v69, v49
	v_pk_fma_f32 v[48:49], v[38:39], s[26:27], v[64:65] neg_lo:[0,0,1] neg_hi:[0,0,1]
	v_mov_b32_e32 v73, v75
	v_pk_add_f32 v[46:47], v[46:47], v[68:69]
	v_mov_b32_e32 v75, v49
	v_pk_add_f32 v[46:47], v[46:47], v[74:75]
	global_store_dwordx2 v[62:63], v[46:47], off
	v_pk_mul_f32 v[46:47], v[20:21], s[12:13]
	v_pk_mul_f32 v[54:55], v[24:25], s[20:21]
	v_pk_fma_f32 v[48:49], v[22:23], s[4:5], v[46:47] neg_lo:[1,0,0] neg_hi:[1,0,0]
	v_pk_fma_f32 v[52:53], v[14:15], s[4:5], v[46:47]
	v_pk_fma_f32 v[56:57], v[28:29], s[34:35], v[54:55] op_sel:[1,0,0] neg_lo:[1,0,0] neg_hi:[1,0,0]
	v_mov_b32_e32 v49, v53
	v_pk_fma_f32 v[58:59], v[18:19], s[34:35], v[54:55]
	v_pk_add_f32 v[48:49], v[2:3], v[48:49]
	v_mov_b32_e32 v57, v59
	s_mov_b32 s11, s6
	v_pk_add_f32 v[48:49], v[48:49], v[56:57]
	v_pk_mul_f32 v[56:57], v[32:33], s[10:11]
	v_pk_fma_f32 v[46:47], v[14:15], s[4:5], v[46:47] neg_lo:[0,0,1] neg_hi:[0,0,1]
	v_pk_fma_f32 v[60:61], v[34:35], s[6:7], v[56:57] op_sel:[1,0,0] neg_lo:[1,0,0] neg_hi:[1,0,0]
	v_pk_fma_f32 v[62:63], v[26:27], s[6:7], v[56:57]
	v_mov_b32_e32 v53, v47
	v_mov_b32_e32 v61, v63
	v_pk_add_f32 v[48:49], v[48:49], v[60:61]
	v_pk_mul_f32 v[60:61], v[42:43], s[2:3]
	v_pk_fma_f32 v[46:47], v[18:19], s[34:35], v[54:55] neg_lo:[0,0,1] neg_hi:[0,0,1]
	v_pk_fma_f32 v[64:65], v[44:45], s[22:23], v[60:61] op_sel:[1,0,0] neg_lo:[1,0,0] neg_hi:[1,0,0]
	v_pk_fma_f32 v[68:69], v[30:31], s[22:23], v[60:61]
	v_mov_b32_e32 v59, v47
	v_mov_b32_e32 v65, v69
	v_pk_add_f32 v[46:47], v[2:3], v[52:53]
	v_pk_fma_f32 v[52:53], v[26:27], s[6:7], v[56:57] neg_lo:[0,0,1] neg_hi:[0,0,1]
	v_pk_add_f32 v[48:49], v[48:49], v[64:65]
	v_pk_mul_f32 v[64:65], v[66:67], s[14:15]
	v_pk_add_f32 v[46:47], v[46:47], v[58:59]
	v_mov_b32_e32 v63, v53
	v_pk_fma_f32 v[52:53], v[30:31], s[22:23], v[60:61] neg_lo:[0,0,1] neg_hi:[0,0,1]
	v_pk_add_f32 v[50:51], v[50:51], v[72:73]
	v_pk_fma_f32 v[72:73], v[70:71], s[8:9], v[64:65] op_sel:[1,0,0] neg_lo:[1,0,0] neg_hi:[1,0,0]
	v_pk_fma_f32 v[74:75], v[38:39], s[8:9], v[64:65]
	v_pk_add_f32 v[46:47], v[46:47], v[62:63]
	v_mov_b32_e32 v69, v53
	v_pk_fma_f32 v[52:53], v[38:39], s[8:9], v[64:65] neg_lo:[0,0,1] neg_hi:[0,0,1]
	v_mov_b32_e32 v73, v75
	v_pk_add_f32 v[46:47], v[46:47], v[68:69]
	v_mov_b32_e32 v75, v53
	v_pk_add_f32 v[46:47], v[46:47], v[74:75]
	global_store_dwordx2 v[36:37], v[46:47], off
	v_pk_mul_f32 v[36:37], v[20:21], s[14:15]
	v_pk_mul_f32 v[46:47], v[24:25], s[18:19]
	v_pk_fma_f32 v[52:53], v[22:23], s[8:9], v[36:37] neg_lo:[1,0,0] neg_hi:[1,0,0]
	v_pk_fma_f32 v[54:55], v[14:15], s[8:9], v[36:37]
	v_pk_fma_f32 v[56:57], v[28:29], s[30:31], v[46:47] op_sel:[1,0,0] neg_lo:[1,0,0] neg_hi:[1,0,0]
	v_mov_b32_e32 v53, v55
	v_pk_fma_f32 v[58:59], v[18:19], s[30:31], v[46:47]
	v_pk_add_f32 v[52:53], v[2:3], v[52:53]
	v_mov_b32_e32 v57, v59
	v_pk_add_f32 v[52:53], v[52:53], v[56:57]
	v_pk_mul_f32 v[56:57], v[32:33], s[2:3]
	v_pk_fma_f32 v[36:37], v[14:15], s[8:9], v[36:37] neg_lo:[0,0,1] neg_hi:[0,0,1]
	v_pk_fma_f32 v[60:61], v[34:35], s[22:23], v[56:57] op_sel:[1,0,0] neg_lo:[1,0,0] neg_hi:[1,0,0]
	v_pk_fma_f32 v[62:63], v[26:27], s[22:23], v[56:57]
	v_mov_b32_e32 v55, v37
	v_mov_b32_e32 v61, v63
	v_pk_add_f32 v[52:53], v[52:53], v[60:61]
	v_pk_mul_f32 v[60:61], v[42:43], s[16:17]
	v_pk_fma_f32 v[36:37], v[18:19], s[30:31], v[46:47] neg_lo:[0,0,1] neg_hi:[0,0,1]
	v_pk_fma_f32 v[64:65], v[44:45], s[24:25], v[60:61] op_sel:[1,0,0] neg_lo:[1,0,0] neg_hi:[1,0,0]
	v_pk_fma_f32 v[68:69], v[30:31], s[24:25], v[60:61]
	v_mov_b32_e32 v59, v37
	v_mov_b32_e32 v65, v69
	v_pk_add_f32 v[36:37], v[2:3], v[54:55]
	v_pk_fma_f32 v[46:47], v[26:27], s[22:23], v[56:57] neg_lo:[0,0,1] neg_hi:[0,0,1]
	v_pk_add_f32 v[52:53], v[52:53], v[64:65]
	v_pk_mul_f32 v[64:65], v[66:67], s[10:11]
	v_pk_add_f32 v[36:37], v[36:37], v[58:59]
	v_mov_b32_e32 v63, v47
	v_pk_fma_f32 v[46:47], v[30:31], s[24:25], v[60:61] neg_lo:[0,0,1] neg_hi:[0,0,1]
	v_pk_add_f32 v[48:49], v[48:49], v[72:73]
	v_pk_fma_f32 v[72:73], v[70:71], s[6:7], v[64:65] op_sel:[1,0,0] neg_lo:[1,0,0] neg_hi:[1,0,0]
	v_pk_fma_f32 v[74:75], v[38:39], s[6:7], v[64:65]
	v_pk_add_f32 v[36:37], v[36:37], v[62:63]
	v_mov_b32_e32 v69, v47
	v_pk_fma_f32 v[46:47], v[38:39], s[6:7], v[64:65] neg_lo:[0,0,1] neg_hi:[0,0,1]
	v_mov_b32_e32 v73, v75
	v_pk_add_f32 v[36:37], v[36:37], v[68:69]
	v_mov_b32_e32 v75, v47
	v_pk_add_f32 v[36:37], v[36:37], v[74:75]
	global_store_dwordx2 v[16:17], v[36:37], off
	v_pk_mul_f32 v[16:17], v[20:21], s[16:17]
	v_pk_mul_f32 v[24:25], v[24:25], s[0:1]
	v_pk_fma_f32 v[20:21], v[22:23], s[24:25], v[16:17] neg_lo:[1,0,0] neg_hi:[1,0,0]
	v_pk_fma_f32 v[22:23], v[14:15], s[24:25], v[16:17]
	v_pk_fma_f32 v[28:29], v[28:29], s[26:27], v[24:25] op_sel:[1,0,0] neg_lo:[1,0,0] neg_hi:[1,0,0]
	v_mov_b32_e32 v21, v23
	v_pk_fma_f32 v[36:37], v[18:19], s[26:27], v[24:25]
	v_pk_add_f32 v[20:21], v[2:3], v[20:21]
	v_mov_b32_e32 v29, v37
	v_pk_add_f32 v[20:21], v[20:21], v[28:29]
	v_pk_mul_f32 v[28:29], v[32:33], s[14:15]
	v_pk_fma_f32 v[14:15], v[14:15], s[24:25], v[16:17] neg_lo:[0,0,1] neg_hi:[0,0,1]
	v_pk_fma_f32 v[32:33], v[34:35], s[8:9], v[28:29] op_sel:[1,0,0] neg_lo:[1,0,0] neg_hi:[1,0,0]
	v_pk_fma_f32 v[34:35], v[26:27], s[8:9], v[28:29]
	v_mov_b32_e32 v23, v15
	v_mov_b32_e32 v33, v35
	v_pk_add_f32 v[20:21], v[20:21], v[32:33]
	v_pk_mul_f32 v[32:33], v[42:43], s[10:11]
	v_pk_fma_f32 v[14:15], v[18:19], s[26:27], v[24:25] neg_lo:[0,0,1] neg_hi:[0,0,1]
	v_pk_fma_f32 v[42:43], v[44:45], s[6:7], v[32:33] op_sel:[1,0,0] neg_lo:[1,0,0] neg_hi:[1,0,0]
	v_pk_fma_f32 v[44:45], v[30:31], s[6:7], v[32:33]
	v_pk_add_f32 v[2:3], v[2:3], v[22:23]
	v_mov_b32_e32 v43, v45
	v_mov_b32_e32 v37, v15
	v_pk_fma_f32 v[14:15], v[26:27], s[8:9], v[28:29] neg_lo:[0,0,1] neg_hi:[0,0,1]
	v_pk_add_f32 v[20:21], v[20:21], v[42:43]
	v_pk_mul_f32 v[42:43], v[66:67], s[12:13]
	v_pk_add_f32 v[2:3], v[2:3], v[36:37]
	v_mov_b32_e32 v35, v15
	v_pk_fma_f32 v[14:15], v[30:31], s[6:7], v[32:33] neg_lo:[0,0,1] neg_hi:[0,0,1]
	v_pk_fma_f32 v[46:47], v[70:71], s[4:5], v[42:43] op_sel:[1,0,0] neg_lo:[1,0,0] neg_hi:[1,0,0]
	v_pk_fma_f32 v[54:55], v[38:39], s[4:5], v[42:43]
	v_pk_add_f32 v[2:3], v[2:3], v[34:35]
	v_mov_b32_e32 v45, v15
	v_pk_fma_f32 v[14:15], v[38:39], s[4:5], v[42:43] neg_lo:[0,0,1] neg_hi:[0,0,1]
	v_mov_b32_e32 v47, v55
	v_pk_add_f32 v[2:3], v[2:3], v[44:45]
	v_mov_b32_e32 v55, v15
	v_pk_add_f32 v[2:3], v[2:3], v[54:55]
	v_pk_add_f32 v[52:53], v[52:53], v[72:73]
	;; [unrolled: 1-line block ×3, first 2 shown]
	global_store_dwordx2 v[4:5], v[2:3], off
	global_store_dwordx2 v[6:7], v[20:21], off
	;; [unrolled: 1-line block ×6, first 2 shown]
.LBB0_29:
	s_endpgm
	.section	.rodata,"a",@progbits
	.p2align	6, 0x0
	.amdhsa_kernel fft_rtc_back_len1210_factors_2_5_11_11_wgs_110_tpt_110_halfLds_sp_ip_CI_sbrr_dirReg
		.amdhsa_group_segment_fixed_size 0
		.amdhsa_private_segment_fixed_size 0
		.amdhsa_kernarg_size 88
		.amdhsa_user_sgpr_count 2
		.amdhsa_user_sgpr_dispatch_ptr 0
		.amdhsa_user_sgpr_queue_ptr 0
		.amdhsa_user_sgpr_kernarg_segment_ptr 1
		.amdhsa_user_sgpr_dispatch_id 0
		.amdhsa_user_sgpr_kernarg_preload_length 0
		.amdhsa_user_sgpr_kernarg_preload_offset 0
		.amdhsa_user_sgpr_private_segment_size 0
		.amdhsa_uses_dynamic_stack 0
		.amdhsa_enable_private_segment 0
		.amdhsa_system_sgpr_workgroup_id_x 1
		.amdhsa_system_sgpr_workgroup_id_y 0
		.amdhsa_system_sgpr_workgroup_id_z 0
		.amdhsa_system_sgpr_workgroup_info 0
		.amdhsa_system_vgpr_workitem_id 0
		.amdhsa_next_free_vgpr 82
		.amdhsa_next_free_sgpr 36
		.amdhsa_accum_offset 84
		.amdhsa_reserve_vcc 1
		.amdhsa_float_round_mode_32 0
		.amdhsa_float_round_mode_16_64 0
		.amdhsa_float_denorm_mode_32 3
		.amdhsa_float_denorm_mode_16_64 3
		.amdhsa_dx10_clamp 1
		.amdhsa_ieee_mode 1
		.amdhsa_fp16_overflow 0
		.amdhsa_tg_split 0
		.amdhsa_exception_fp_ieee_invalid_op 0
		.amdhsa_exception_fp_denorm_src 0
		.amdhsa_exception_fp_ieee_div_zero 0
		.amdhsa_exception_fp_ieee_overflow 0
		.amdhsa_exception_fp_ieee_underflow 0
		.amdhsa_exception_fp_ieee_inexact 0
		.amdhsa_exception_int_div_zero 0
	.end_amdhsa_kernel
	.text
.Lfunc_end0:
	.size	fft_rtc_back_len1210_factors_2_5_11_11_wgs_110_tpt_110_halfLds_sp_ip_CI_sbrr_dirReg, .Lfunc_end0-fft_rtc_back_len1210_factors_2_5_11_11_wgs_110_tpt_110_halfLds_sp_ip_CI_sbrr_dirReg
                                        ; -- End function
	.section	.AMDGPU.csdata,"",@progbits
; Kernel info:
; codeLenInByte = 9504
; NumSgprs: 42
; NumVgprs: 82
; NumAgprs: 0
; TotalNumVgprs: 82
; ScratchSize: 0
; MemoryBound: 0
; FloatMode: 240
; IeeeMode: 1
; LDSByteSize: 0 bytes/workgroup (compile time only)
; SGPRBlocks: 5
; VGPRBlocks: 10
; NumSGPRsForWavesPerEU: 42
; NumVGPRsForWavesPerEU: 82
; AccumOffset: 84
; Occupancy: 5
; WaveLimiterHint : 1
; COMPUTE_PGM_RSRC2:SCRATCH_EN: 0
; COMPUTE_PGM_RSRC2:USER_SGPR: 2
; COMPUTE_PGM_RSRC2:TRAP_HANDLER: 0
; COMPUTE_PGM_RSRC2:TGID_X_EN: 1
; COMPUTE_PGM_RSRC2:TGID_Y_EN: 0
; COMPUTE_PGM_RSRC2:TGID_Z_EN: 0
; COMPUTE_PGM_RSRC2:TIDIG_COMP_CNT: 0
; COMPUTE_PGM_RSRC3_GFX90A:ACCUM_OFFSET: 20
; COMPUTE_PGM_RSRC3_GFX90A:TG_SPLIT: 0
	.text
	.p2alignl 6, 3212836864
	.fill 256, 4, 3212836864
	.type	__hip_cuid_134c4d618d718969,@object ; @__hip_cuid_134c4d618d718969
	.section	.bss,"aw",@nobits
	.globl	__hip_cuid_134c4d618d718969
__hip_cuid_134c4d618d718969:
	.byte	0                               ; 0x0
	.size	__hip_cuid_134c4d618d718969, 1

	.ident	"AMD clang version 19.0.0git (https://github.com/RadeonOpenCompute/llvm-project roc-6.4.0 25133 c7fe45cf4b819c5991fe208aaa96edf142730f1d)"
	.section	".note.GNU-stack","",@progbits
	.addrsig
	.addrsig_sym __hip_cuid_134c4d618d718969
	.amdgpu_metadata
---
amdhsa.kernels:
  - .agpr_count:     0
    .args:
      - .actual_access:  read_only
        .address_space:  global
        .offset:         0
        .size:           8
        .value_kind:     global_buffer
      - .offset:         8
        .size:           8
        .value_kind:     by_value
      - .actual_access:  read_only
        .address_space:  global
        .offset:         16
        .size:           8
        .value_kind:     global_buffer
      - .actual_access:  read_only
        .address_space:  global
        .offset:         24
        .size:           8
        .value_kind:     global_buffer
      - .offset:         32
        .size:           8
        .value_kind:     by_value
      - .actual_access:  read_only
        .address_space:  global
        .offset:         40
        .size:           8
        .value_kind:     global_buffer
      - .actual_access:  read_only
        .address_space:  global
        .offset:         48
        .size:           8
        .value_kind:     global_buffer
      - .offset:         56
        .size:           4
        .value_kind:     by_value
      - .actual_access:  read_only
        .address_space:  global
        .offset:         64
        .size:           8
        .value_kind:     global_buffer
      - .actual_access:  read_only
        .address_space:  global
        .offset:         72
        .size:           8
        .value_kind:     global_buffer
      - .address_space:  global
        .offset:         80
        .size:           8
        .value_kind:     global_buffer
    .group_segment_fixed_size: 0
    .kernarg_segment_align: 8
    .kernarg_segment_size: 88
    .language:       OpenCL C
    .language_version:
      - 2
      - 0
    .max_flat_workgroup_size: 110
    .name:           fft_rtc_back_len1210_factors_2_5_11_11_wgs_110_tpt_110_halfLds_sp_ip_CI_sbrr_dirReg
    .private_segment_fixed_size: 0
    .sgpr_count:     42
    .sgpr_spill_count: 0
    .symbol:         fft_rtc_back_len1210_factors_2_5_11_11_wgs_110_tpt_110_halfLds_sp_ip_CI_sbrr_dirReg.kd
    .uniform_work_group_size: 1
    .uses_dynamic_stack: false
    .vgpr_count:     82
    .vgpr_spill_count: 0
    .wavefront_size: 64
amdhsa.target:   amdgcn-amd-amdhsa--gfx950
amdhsa.version:
  - 1
  - 2
...

	.end_amdgpu_metadata
